;; amdgpu-corpus repo=ROCm/rocFFT kind=compiled arch=gfx906 opt=O3
	.text
	.amdgcn_target "amdgcn-amd-amdhsa--gfx906"
	.amdhsa_code_object_version 6
	.protected	fft_rtc_fwd_len28_factors_7_4_wgs_64_tpt_4_halfLds_dp_op_CI_CI_sbrr_dirReg ; -- Begin function fft_rtc_fwd_len28_factors_7_4_wgs_64_tpt_4_halfLds_dp_op_CI_CI_sbrr_dirReg
	.globl	fft_rtc_fwd_len28_factors_7_4_wgs_64_tpt_4_halfLds_dp_op_CI_CI_sbrr_dirReg
	.p2align	8
	.type	fft_rtc_fwd_len28_factors_7_4_wgs_64_tpt_4_halfLds_dp_op_CI_CI_sbrr_dirReg,@function
fft_rtc_fwd_len28_factors_7_4_wgs_64_tpt_4_halfLds_dp_op_CI_CI_sbrr_dirReg: ; @fft_rtc_fwd_len28_factors_7_4_wgs_64_tpt_4_halfLds_dp_op_CI_CI_sbrr_dirReg
; %bb.0:
	s_load_dwordx4 s[16:19], s[4:5], 0x18
	s_load_dwordx4 s[8:11], s[4:5], 0x0
	;; [unrolled: 1-line block ×3, first 2 shown]
	v_lshrrev_b32_e32 v30, 2, v0
	v_mov_b32_e32 v3, 0
	s_waitcnt lgkmcnt(0)
	s_load_dwordx2 s[2:3], s[16:17], 0x0
	s_load_dwordx2 s[20:21], s[18:19], 0x0
	v_cmp_lt_u64_e64 s[0:1], s[10:11], 2
	v_mov_b32_e32 v1, 0
	v_lshl_or_b32 v5, s6, 4, v30
	v_mov_b32_e32 v6, v3
	s_and_b64 vcc, exec, s[0:1]
	v_mov_b32_e32 v2, 0
	s_cbranch_vccnz .LBB0_8
; %bb.1:
	s_load_dwordx2 s[0:1], s[4:5], 0x10
	s_add_u32 s6, s18, 8
	s_addc_u32 s7, s19, 0
	s_add_u32 s22, s16, 8
	v_mov_b32_e32 v1, 0
	s_addc_u32 s23, s17, 0
	v_mov_b32_e32 v2, 0
	s_waitcnt lgkmcnt(0)
	s_add_u32 s24, s0, 8
	v_mov_b32_e32 v35, v2
	s_addc_u32 s25, s1, 0
	s_mov_b64 s[26:27], 1
	v_mov_b32_e32 v34, v1
.LBB0_2:                                ; =>This Inner Loop Header: Depth=1
	s_load_dwordx2 s[28:29], s[24:25], 0x0
                                        ; implicit-def: $vgpr38_vgpr39
	s_waitcnt lgkmcnt(0)
	v_or_b32_e32 v4, s29, v6
	v_cmp_ne_u64_e32 vcc, 0, v[3:4]
	s_and_saveexec_b64 s[0:1], vcc
	s_xor_b64 s[30:31], exec, s[0:1]
	s_cbranch_execz .LBB0_4
; %bb.3:                                ;   in Loop: Header=BB0_2 Depth=1
	v_cvt_f32_u32_e32 v4, s28
	v_cvt_f32_u32_e32 v7, s29
	s_sub_u32 s0, 0, s28
	s_subb_u32 s1, 0, s29
	v_mac_f32_e32 v4, 0x4f800000, v7
	v_rcp_f32_e32 v4, v4
	v_mul_f32_e32 v4, 0x5f7ffffc, v4
	v_mul_f32_e32 v7, 0x2f800000, v4
	v_trunc_f32_e32 v7, v7
	v_mac_f32_e32 v4, 0xcf800000, v7
	v_cvt_u32_f32_e32 v7, v7
	v_cvt_u32_f32_e32 v4, v4
	v_mul_lo_u32 v8, s0, v7
	v_mul_hi_u32 v9, s0, v4
	v_mul_lo_u32 v11, s1, v4
	v_mul_lo_u32 v10, s0, v4
	v_add_u32_e32 v8, v9, v8
	v_add_u32_e32 v8, v8, v11
	v_mul_hi_u32 v9, v4, v10
	v_mul_lo_u32 v11, v4, v8
	v_mul_hi_u32 v13, v4, v8
	v_mul_hi_u32 v12, v7, v10
	v_mul_lo_u32 v10, v7, v10
	v_mul_hi_u32 v14, v7, v8
	v_add_co_u32_e32 v9, vcc, v9, v11
	v_addc_co_u32_e32 v11, vcc, 0, v13, vcc
	v_mul_lo_u32 v8, v7, v8
	v_add_co_u32_e32 v9, vcc, v9, v10
	v_addc_co_u32_e32 v9, vcc, v11, v12, vcc
	v_addc_co_u32_e32 v10, vcc, 0, v14, vcc
	v_add_co_u32_e32 v8, vcc, v9, v8
	v_addc_co_u32_e32 v9, vcc, 0, v10, vcc
	v_add_co_u32_e32 v4, vcc, v4, v8
	v_addc_co_u32_e32 v7, vcc, v7, v9, vcc
	v_mul_lo_u32 v8, s0, v7
	v_mul_hi_u32 v9, s0, v4
	v_mul_lo_u32 v10, s1, v4
	v_mul_lo_u32 v11, s0, v4
	v_add_u32_e32 v8, v9, v8
	v_add_u32_e32 v8, v8, v10
	v_mul_lo_u32 v12, v4, v8
	v_mul_hi_u32 v13, v4, v11
	v_mul_hi_u32 v14, v4, v8
	;; [unrolled: 1-line block ×3, first 2 shown]
	v_mul_lo_u32 v11, v7, v11
	v_mul_hi_u32 v9, v7, v8
	v_add_co_u32_e32 v12, vcc, v13, v12
	v_addc_co_u32_e32 v13, vcc, 0, v14, vcc
	v_mul_lo_u32 v8, v7, v8
	v_add_co_u32_e32 v11, vcc, v12, v11
	v_addc_co_u32_e32 v10, vcc, v13, v10, vcc
	v_addc_co_u32_e32 v9, vcc, 0, v9, vcc
	v_add_co_u32_e32 v8, vcc, v10, v8
	v_addc_co_u32_e32 v9, vcc, 0, v9, vcc
	v_add_co_u32_e32 v4, vcc, v4, v8
	v_addc_co_u32_e32 v9, vcc, v7, v9, vcc
	v_mad_u64_u32 v[7:8], s[0:1], v5, v9, 0
	v_mul_hi_u32 v10, v5, v4
	v_add_co_u32_e32 v11, vcc, v10, v7
	v_addc_co_u32_e32 v12, vcc, 0, v8, vcc
	v_mad_u64_u32 v[7:8], s[0:1], v6, v4, 0
	v_mad_u64_u32 v[9:10], s[0:1], v6, v9, 0
	v_add_co_u32_e32 v4, vcc, v11, v7
	v_addc_co_u32_e32 v4, vcc, v12, v8, vcc
	v_addc_co_u32_e32 v7, vcc, 0, v10, vcc
	v_add_co_u32_e32 v4, vcc, v4, v9
	v_addc_co_u32_e32 v9, vcc, 0, v7, vcc
	v_mul_lo_u32 v10, s29, v4
	v_mul_lo_u32 v11, s28, v9
	v_mad_u64_u32 v[7:8], s[0:1], s28, v4, 0
	v_add3_u32 v8, v8, v11, v10
	v_sub_u32_e32 v10, v6, v8
	v_mov_b32_e32 v11, s29
	v_sub_co_u32_e32 v7, vcc, v5, v7
	v_subb_co_u32_e64 v10, s[0:1], v10, v11, vcc
	v_subrev_co_u32_e64 v11, s[0:1], s28, v7
	v_subbrev_co_u32_e64 v10, s[0:1], 0, v10, s[0:1]
	v_cmp_le_u32_e64 s[0:1], s29, v10
	v_cndmask_b32_e64 v12, 0, -1, s[0:1]
	v_cmp_le_u32_e64 s[0:1], s28, v11
	v_cndmask_b32_e64 v11, 0, -1, s[0:1]
	v_cmp_eq_u32_e64 s[0:1], s29, v10
	v_cndmask_b32_e64 v10, v12, v11, s[0:1]
	v_add_co_u32_e64 v11, s[0:1], 2, v4
	v_addc_co_u32_e64 v12, s[0:1], 0, v9, s[0:1]
	v_add_co_u32_e64 v13, s[0:1], 1, v4
	v_addc_co_u32_e64 v14, s[0:1], 0, v9, s[0:1]
	v_subb_co_u32_e32 v8, vcc, v6, v8, vcc
	v_cmp_ne_u32_e64 s[0:1], 0, v10
	v_cmp_le_u32_e32 vcc, s29, v8
	v_cndmask_b32_e64 v10, v14, v12, s[0:1]
	v_cndmask_b32_e64 v12, 0, -1, vcc
	v_cmp_le_u32_e32 vcc, s28, v7
	v_cndmask_b32_e64 v7, 0, -1, vcc
	v_cmp_eq_u32_e32 vcc, s29, v8
	v_cndmask_b32_e32 v7, v12, v7, vcc
	v_cmp_ne_u32_e32 vcc, 0, v7
	v_cndmask_b32_e64 v7, v13, v11, s[0:1]
	v_cndmask_b32_e32 v39, v9, v10, vcc
	v_cndmask_b32_e32 v38, v4, v7, vcc
.LBB0_4:                                ;   in Loop: Header=BB0_2 Depth=1
	s_andn2_saveexec_b64 s[0:1], s[30:31]
	s_cbranch_execz .LBB0_6
; %bb.5:                                ;   in Loop: Header=BB0_2 Depth=1
	v_cvt_f32_u32_e32 v4, s28
	s_sub_i32 s30, 0, s28
	v_mov_b32_e32 v39, v3
	v_rcp_iflag_f32_e32 v4, v4
	v_mul_f32_e32 v4, 0x4f7ffffe, v4
	v_cvt_u32_f32_e32 v4, v4
	v_mul_lo_u32 v7, s30, v4
	v_mul_hi_u32 v7, v4, v7
	v_add_u32_e32 v4, v4, v7
	v_mul_hi_u32 v4, v5, v4
	v_mul_lo_u32 v7, v4, s28
	v_add_u32_e32 v8, 1, v4
	v_sub_u32_e32 v7, v5, v7
	v_subrev_u32_e32 v9, s28, v7
	v_cmp_le_u32_e32 vcc, s28, v7
	v_cndmask_b32_e32 v7, v7, v9, vcc
	v_cndmask_b32_e32 v4, v4, v8, vcc
	v_add_u32_e32 v8, 1, v4
	v_cmp_le_u32_e32 vcc, s28, v7
	v_cndmask_b32_e32 v38, v4, v8, vcc
.LBB0_6:                                ;   in Loop: Header=BB0_2 Depth=1
	s_or_b64 exec, exec, s[0:1]
	v_mul_lo_u32 v4, v39, s28
	v_mul_lo_u32 v9, v38, s29
	v_mad_u64_u32 v[7:8], s[0:1], v38, s28, 0
	s_load_dwordx2 s[0:1], s[22:23], 0x0
	s_load_dwordx2 s[28:29], s[6:7], 0x0
	v_add3_u32 v4, v8, v9, v4
	v_sub_co_u32_e32 v5, vcc, v5, v7
	v_subb_co_u32_e32 v4, vcc, v6, v4, vcc
	s_waitcnt lgkmcnt(0)
	v_mul_lo_u32 v6, s0, v4
	v_mul_lo_u32 v7, s1, v5
	v_mad_u64_u32 v[1:2], s[0:1], s0, v5, v[1:2]
	v_mul_lo_u32 v4, s28, v4
	v_mul_lo_u32 v8, s29, v5
	v_mad_u64_u32 v[34:35], s[0:1], s28, v5, v[34:35]
	s_add_u32 s26, s26, 1
	s_addc_u32 s27, s27, 0
	s_add_u32 s6, s6, 8
	v_add3_u32 v35, v8, v35, v4
	s_addc_u32 s7, s7, 0
	v_mov_b32_e32 v4, s10
	s_add_u32 s22, s22, 8
	v_mov_b32_e32 v5, s11
	s_addc_u32 s23, s23, 0
	v_cmp_ge_u64_e32 vcc, s[26:27], v[4:5]
	s_add_u32 s24, s24, 8
	v_add3_u32 v2, v7, v2, v6
	s_addc_u32 s25, s25, 0
	s_cbranch_vccnz .LBB0_9
; %bb.7:                                ;   in Loop: Header=BB0_2 Depth=1
	v_mov_b32_e32 v5, v38
	v_mov_b32_e32 v6, v39
	s_branch .LBB0_2
.LBB0_8:
	v_mov_b32_e32 v35, v2
	v_mov_b32_e32 v39, v6
	;; [unrolled: 1-line block ×4, first 2 shown]
.LBB0_9:
	s_load_dwordx2 s[0:1], s[4:5], 0x28
	s_lshl_b64 s[10:11], s[10:11], 3
	s_add_u32 s4, s18, s10
	s_addc_u32 s5, s19, s11
	v_and_b32_e32 v46, 3, v0
	s_waitcnt lgkmcnt(0)
	v_cmp_gt_u64_e32 vcc, s[0:1], v[38:39]
	v_cmp_le_u64_e64 s[0:1], s[0:1], v[38:39]
                                        ; implicit-def: $vgpr47
	s_and_saveexec_b64 s[6:7], s[0:1]
	s_xor_b64 s[0:1], exec, s[6:7]
; %bb.10:
	v_and_b32_e32 v46, 3, v0
	v_or_b32_e32 v47, 4, v46
                                        ; implicit-def: $vgpr1_vgpr2
; %bb.11:
	s_or_saveexec_b64 s[6:7], s[0:1]
                                        ; implicit-def: $vgpr8_vgpr9
                                        ; implicit-def: $vgpr12_vgpr13
                                        ; implicit-def: $vgpr24_vgpr25
                                        ; implicit-def: $vgpr28_vgpr29
                                        ; implicit-def: $vgpr20_vgpr21
                                        ; implicit-def: $vgpr16_vgpr17
                                        ; implicit-def: $vgpr4_vgpr5
	s_xor_b64 exec, exec, s[6:7]
	s_cbranch_execz .LBB0_13
; %bb.12:
	s_add_u32 s0, s16, s10
	s_addc_u32 s1, s17, s11
	s_load_dwordx2 s[0:1], s[0:1], 0x0
	v_mad_u64_u32 v[3:4], s[10:11], s2, v46, 0
	v_or_b32_e32 v47, 4, v46
	v_or_b32_e32 v12, 12, v46
	s_waitcnt lgkmcnt(0)
	v_mul_lo_u32 v9, s1, v38
	v_mul_lo_u32 v10, s0, v39
	v_mad_u64_u32 v[5:6], s[0:1], s0, v38, 0
	v_mov_b32_e32 v0, v4
	v_mad_u64_u32 v[7:8], s[0:1], s3, v46, v[0:1]
	v_add3_u32 v6, v6, v10, v9
	v_lshlrev_b64 v[5:6], 4, v[5:6]
	v_mov_b32_e32 v4, v7
	v_mov_b32_e32 v0, s13
	v_add_co_u32_e64 v7, s[0:1], s12, v5
	v_addc_co_u32_e64 v8, s[0:1], v0, v6, s[0:1]
	v_mad_u64_u32 v[5:6], s[0:1], s2, v47, 0
	v_lshlrev_b64 v[0:1], 4, v[1:2]
	v_add_co_u32_e64 v10, s[0:1], v7, v0
	v_mov_b32_e32 v2, v6
	v_addc_co_u32_e64 v11, s[0:1], v8, v1, s[0:1]
	v_lshlrev_b64 v[0:1], 4, v[3:4]
	v_mad_u64_u32 v[2:3], s[0:1], s3, v47, v[2:3]
	v_or_b32_e32 v7, 8, v46
	v_mad_u64_u32 v[3:4], s[0:1], s2, v7, 0
	v_add_co_u32_e64 v0, s[0:1], v10, v0
	v_mov_b32_e32 v6, v2
	v_mov_b32_e32 v2, v4
	v_addc_co_u32_e64 v1, s[0:1], v11, v1, s[0:1]
	v_mad_u64_u32 v[7:8], s[0:1], s3, v7, v[2:3]
	v_mad_u64_u32 v[8:9], s[0:1], s2, v12, 0
	v_lshlrev_b64 v[5:6], 4, v[5:6]
	v_mov_b32_e32 v4, v7
	v_add_co_u32_e64 v31, s[0:1], v10, v5
	v_lshlrev_b64 v[2:3], 4, v[3:4]
	v_mov_b32_e32 v4, v9
	v_addc_co_u32_e64 v32, s[0:1], v11, v6, s[0:1]
	v_mad_u64_u32 v[4:5], s[0:1], s3, v12, v[4:5]
	v_or_b32_e32 v7, 16, v46
	v_mad_u64_u32 v[5:6], s[0:1], s2, v7, 0
	v_add_co_u32_e64 v36, s[0:1], v10, v2
	v_mov_b32_e32 v9, v4
	v_mov_b32_e32 v4, v6
	v_addc_co_u32_e64 v37, s[0:1], v11, v3, s[0:1]
	v_lshlrev_b64 v[2:3], 4, v[8:9]
	v_mad_u64_u32 v[6:7], s[0:1], s3, v7, v[4:5]
	v_or_b32_e32 v9, 20, v46
	v_mad_u64_u32 v[7:8], s[0:1], s2, v9, 0
	v_add_co_u32_e64 v40, s[0:1], v10, v2
	v_mov_b32_e32 v4, v8
	v_addc_co_u32_e64 v41, s[0:1], v11, v3, s[0:1]
	v_lshlrev_b64 v[2:3], 4, v[5:6]
	v_mad_u64_u32 v[4:5], s[0:1], s3, v9, v[4:5]
	v_or_b32_e32 v9, 24, v46
	v_mad_u64_u32 v[5:6], s[0:1], s2, v9, 0
	v_add_co_u32_e64 v42, s[0:1], v10, v2
	v_mov_b32_e32 v8, v4
	v_mov_b32_e32 v4, v6
	v_addc_co_u32_e64 v43, s[0:1], v11, v3, s[0:1]
	v_lshlrev_b64 v[2:3], 4, v[7:8]
	v_mad_u64_u32 v[6:7], s[0:1], s3, v9, v[4:5]
	v_add_co_u32_e64 v44, s[0:1], v10, v2
	v_addc_co_u32_e64 v45, s[0:1], v11, v3, s[0:1]
	v_lshlrev_b64 v[2:3], 4, v[5:6]
	v_add_co_u32_e64 v48, s[0:1], v10, v2
	v_addc_co_u32_e64 v49, s[0:1], v11, v3, s[0:1]
	global_load_dwordx4 v[2:5], v[0:1], off
	global_load_dwordx4 v[6:9], v[31:32], off
	;; [unrolled: 1-line block ×7, first 2 shown]
.LBB0_13:
	s_or_b64 exec, exec, s[6:7]
	s_waitcnt vmcnt(0)
	v_add_f64 v[0:1], v[6:7], v[26:27]
	v_add_f64 v[31:32], v[10:11], v[22:23]
	;; [unrolled: 1-line block ×3, first 2 shown]
	v_add_f64 v[40:41], v[12:13], -v[24:25]
	v_add_f64 v[42:43], v[20:21], -v[16:17]
	;; [unrolled: 1-line block ×3, first 2 shown]
	s_mov_b32 s10, 0x36b3c0b5
	s_mov_b32 s12, 0xe976ee23
	;; [unrolled: 1-line block ×3, first 2 shown]
	v_add_f64 v[44:45], v[31:32], v[0:1]
	v_add_f64 v[50:51], v[36:37], -v[31:32]
	s_mov_b32 s11, 0x3fac98ee
	v_add_f64 v[52:53], v[42:43], -v[40:41]
	v_add_f64 v[54:55], v[40:41], v[42:43]
	s_mov_b32 s13, 0xbfe11646
	s_mov_b32 s22, 0x429ad128
	s_mov_b32 s7, 0x3fe948f6
	v_add_f64 v[44:45], v[44:45], v[36:37]
	v_add_f64 v[36:37], v[0:1], -v[36:37]
	v_add_f64 v[42:43], v[48:49], -v[42:43]
	v_mul_f64 v[50:51], v[50:51], s[10:11]
	v_mul_f64 v[52:53], v[52:53], s[12:13]
	s_mov_b32 s23, 0x3febfeb5
	v_add_f64 v[0:1], v[31:32], -v[0:1]
	v_add_f64 v[31:32], v[48:49], v[54:55]
	v_add_f64 v[56:57], v[2:3], v[44:45]
	v_add_f64 v[2:3], v[40:41], -v[48:49]
	v_mul_f64 v[40:41], v[36:37], s[6:7]
	s_mov_b32 s16, 0xaaaaaaaa
	s_mov_b32 s18, 0xb247c609
	;; [unrolled: 1-line block ×5, first 2 shown]
	v_fma_f64 v[48:49], v[42:43], s[18:19], v[52:53]
	v_mul_f64 v[54:55], v[2:3], s[22:23]
	v_fma_f64 v[36:37], v[36:37], s[6:7], v[50:51]
	v_fma_f64 v[44:45], v[44:45], s[16:17], v[56:57]
	s_mov_b32 s25, 0x3fe77f67
	s_mov_b32 s27, 0xbfe77f67
	;; [unrolled: 1-line block ×5, first 2 shown]
	v_fma_f64 v[50:51], v[0:1], s[24:25], -v[50:51]
	v_fma_f64 v[0:1], v[0:1], s[26:27], -v[40:41]
	;; [unrolled: 1-line block ×4, first 2 shown]
	s_mov_b32 s28, 0x37c3f68c
	s_mov_b32 s29, 0x3fdc38aa
	v_fma_f64 v[42:43], v[31:32], s[28:29], v[48:49]
	v_add_f64 v[48:49], v[44:45], v[36:37]
	v_add_f64 v[36:37], v[44:45], v[50:51]
	;; [unrolled: 1-line block ×3, first 2 shown]
	v_fma_f64 v[40:41], v[31:32], s[28:29], v[40:41]
	v_fma_f64 v[2:3], v[31:32], s[28:29], v[2:3]
	s_movk_i32 s0, 0xffd0
	v_cmp_ne_u32_e64 s[2:3], 3, v46
	v_lshlrev_b32_e32 v52, 3, v47
	v_add_f64 v[31:32], v[42:43], v[48:49]
	v_add_f64 v[44:45], v[40:41], v[0:1]
	v_add_f64 v[50:51], v[36:37], -v[2:3]
	v_add_f64 v[36:37], v[2:3], v[36:37]
	v_add_f64 v[0:1], v[0:1], -v[40:41]
	v_add_f64 v[2:3], v[48:49], -v[42:43]
	v_mul_u32_u24_e32 v40, 28, v30
	v_lshl_add_u32 v30, v40, 3, 0
	v_mad_u32_u24 v49, v46, 56, v30
	ds_write2_b64 v49, v[56:57], v[31:32] offset1:1
	ds_write2_b64 v49, v[44:45], v[50:51] offset0:2 offset1:3
	v_lshl_add_u32 v50, v46, 3, v30
	s_load_dwordx2 s[4:5], s[4:5], 0x0
	ds_write2_b64 v49, v[36:37], v[0:1] offset0:4 offset1:5
	ds_write_b64 v49, v[2:3] offset:48
	s_waitcnt lgkmcnt(0)
	; wave barrier
	s_waitcnt lgkmcnt(0)
	v_mad_i32_i24 v48, v46, s0, v49
	ds_read_b64 v[42:43], v50
	ds_read_b64 v[44:45], v48 offset:168
	ds_read2_b64 v[30:33], v48 offset0:7 offset1:14
	v_cmp_eq_u32_e64 s[0:1], 3, v46
	v_lshlrev_b32_e32 v51, 3, v40
                                        ; implicit-def: $vgpr40_vgpr41
	s_and_saveexec_b64 s[34:35], s[2:3]
	s_cbranch_execz .LBB0_15
; %bb.14:
	v_add3_u32 v36, 0, v52, v51
	ds_read2_b64 v[0:3], v48 offset0:11 offset1:18
	ds_read_b64 v[36:37], v36
	ds_read_b64 v[40:41], v48 offset:200
.LBB0_15:
	s_or_b64 exec, exec, s[34:35]
	v_add_f64 v[8:9], v[8:9], v[28:29]
	v_add_f64 v[12:13], v[12:13], v[24:25]
	v_add_f64 v[10:11], v[10:11], -v[22:23]
	v_add_f64 v[16:17], v[20:21], v[16:17]
	v_add_f64 v[14:15], v[18:19], -v[14:15]
	v_add_f64 v[6:7], v[6:7], -v[26:27]
	s_waitcnt lgkmcnt(0)
	; wave barrier
	s_waitcnt lgkmcnt(0)
	v_add_f64 v[18:19], v[12:13], v[8:9]
	v_add_f64 v[20:21], v[16:17], -v[12:13]
	v_add_f64 v[22:23], v[14:15], -v[10:11]
	v_add_f64 v[24:25], v[10:11], -v[6:7]
	v_add_f64 v[10:11], v[10:11], v[14:15]
	v_add_f64 v[14:15], v[6:7], -v[14:15]
	v_add_f64 v[18:19], v[18:19], v[16:17]
	v_add_f64 v[16:17], v[8:9], -v[16:17]
	v_mul_f64 v[20:21], v[20:21], s[10:11]
	v_mul_f64 v[22:23], v[22:23], s[12:13]
	v_add_f64 v[8:9], v[12:13], -v[8:9]
	v_mul_f64 v[12:13], v[24:25], s[22:23]
	v_add_f64 v[6:7], v[6:7], v[10:11]
	v_add_f64 v[26:27], v[4:5], v[18:19]
	v_mul_f64 v[4:5], v[16:17], s[6:7]
	v_fma_f64 v[10:11], v[16:17], s[6:7], v[20:21]
	v_fma_f64 v[16:17], v[14:15], s[18:19], v[22:23]
	v_fma_f64 v[22:23], v[24:25], s[22:23], -v[22:23]
	v_fma_f64 v[12:13], v[14:15], s[30:31], -v[12:13]
	v_fma_f64 v[14:15], v[18:19], s[16:17], v[26:27]
	v_fma_f64 v[4:5], v[8:9], s[26:27], -v[4:5]
	v_fma_f64 v[8:9], v[8:9], s[24:25], -v[20:21]
	v_fma_f64 v[16:17], v[6:7], s[28:29], v[16:17]
	v_fma_f64 v[18:19], v[6:7], s[28:29], v[22:23]
	;; [unrolled: 1-line block ×3, first 2 shown]
	v_add_f64 v[10:11], v[14:15], v[10:11]
	v_add_f64 v[4:5], v[14:15], v[4:5]
	;; [unrolled: 1-line block ×3, first 2 shown]
	v_add_f64 v[14:15], v[10:11], -v[16:17]
	v_add_f64 v[20:21], v[4:5], -v[6:7]
	v_add_f64 v[22:23], v[8:9], v[18:19]
	v_add_f64 v[12:13], v[8:9], -v[18:19]
	v_add_f64 v[4:5], v[4:5], v[6:7]
	v_add_f64 v[6:7], v[10:11], v[16:17]
	ds_write2_b64 v49, v[26:27], v[14:15] offset1:1
	ds_write2_b64 v49, v[20:21], v[22:23] offset0:2 offset1:3
	ds_write2_b64 v49, v[12:13], v[4:5] offset0:4 offset1:5
	ds_write_b64 v49, v[6:7] offset:48
	s_waitcnt lgkmcnt(0)
	; wave barrier
	s_waitcnt lgkmcnt(0)
	ds_read2_b64 v[8:11], v48 offset0:7 offset1:14
	ds_read_b64 v[16:17], v50
	ds_read_b64 v[18:19], v48 offset:168
                                        ; implicit-def: $vgpr14_vgpr15
	s_and_saveexec_b64 s[6:7], s[2:3]
	s_cbranch_execz .LBB0_17
; %bb.16:
	v_add3_u32 v12, 0, v52, v51
	ds_read2_b64 v[4:7], v48 offset0:11 offset1:18
	ds_read_b64 v[12:13], v12
	ds_read_b64 v[14:15], v48 offset:200
.LBB0_17:
	s_or_b64 exec, exec, s[6:7]
	s_and_saveexec_b64 s[2:3], vcc
	s_cbranch_execz .LBB0_20
; %bb.18:
	v_mul_lo_u32 v20, s5, v38
	v_mul_lo_u32 v21, s4, v39
	v_mad_u64_u32 v[38:39], s[2:3], s4, v38, 0
	s_mov_b32 s2, 0x24924925
	v_add3_u32 v39, v39, v21, v20
	v_mul_u32_u24_e32 v20, 3, v46
	v_lshlrev_b32_e32 v28, 4, v20
	global_load_dwordx4 v[20:23], v28, s[8:9] offset:32
	global_load_dwordx4 v[24:27], v28, s[8:9] offset:16
	global_load_dwordx4 v[48:51], v28, s[8:9]
	s_waitcnt vmcnt(1)
	v_mul_f64 v[28:29], v[32:33], v[26:27]
	s_waitcnt lgkmcnt(2)
	v_fma_f64 v[28:29], v[10:11], v[24:25], v[28:29]
	v_mul_f64 v[10:11], v[10:11], v[26:27]
	s_waitcnt lgkmcnt(1)
	v_add_f64 v[54:55], v[16:17], -v[28:29]
	s_waitcnt vmcnt(0)
	v_mul_f64 v[28:29], v[8:9], v[50:51]
	v_fma_f64 v[10:11], v[32:33], v[24:25], -v[10:11]
	v_mul_f64 v[24:25], v[30:31], v[50:51]
	v_fma_f64 v[16:17], v[16:17], 2.0, -v[54:55]
	v_fma_f64 v[56:57], v[30:31], v[48:49], -v[28:29]
	s_waitcnt lgkmcnt(0)
	v_mul_f64 v[28:29], v[18:19], v[22:23]
	v_mul_f64 v[22:23], v[44:45], v[22:23]
	v_fma_f64 v[8:9], v[8:9], v[48:49], v[24:25]
	v_add_f64 v[10:11], v[42:43], -v[10:11]
	v_fma_f64 v[28:29], v[44:45], v[20:21], -v[28:29]
	v_fma_f64 v[18:19], v[18:19], v[20:21], v[22:23]
	v_add_f64 v[58:59], v[56:57], -v[28:29]
	v_add_f64 v[18:19], v[8:9], -v[18:19]
	v_add_f64 v[28:29], v[54:55], v[58:59]
	v_add_f64 v[26:27], v[10:11], -v[18:19]
	v_fma_f64 v[8:9], v[8:9], 2.0, -v[18:19]
	v_fma_f64 v[52:53], v[54:55], 2.0, -v[28:29]
	;; [unrolled: 1-line block ×3, first 2 shown]
	v_add_f64 v[18:19], v[16:17], -v[8:9]
	v_fma_f64 v[8:9], v[42:43], 2.0, -v[10:11]
	v_fma_f64 v[10:11], v[56:57], 2.0, -v[58:59]
	;; [unrolled: 1-line block ×3, first 2 shown]
	v_add_f64 v[16:17], v[8:9], -v[10:11]
	v_fma_f64 v[20:21], v[8:9], 2.0, -v[16:17]
	v_mul_hi_u32 v8, v46, s2
	v_sub_u32_e32 v9, v46, v8
	v_lshrrev_b32_e32 v9, 1, v9
	v_add_u32_e32 v8, v9, v8
	v_lshrrev_b32_e32 v8, 2, v8
	v_mul_lo_u32 v8, v8, 7
	v_sub_u32_e32 v24, v46, v8
	v_mad_u64_u32 v[10:11], s[2:3], s20, v24, 0
	v_mov_b32_e32 v8, v11
	v_mad_u64_u32 v[8:9], s[2:3], s21, v24, v[8:9]
	v_mov_b32_e32 v11, v8
	v_lshlrev_b64 v[8:9], 4, v[38:39]
	v_lshlrev_b64 v[10:11], 4, v[10:11]
	v_add_co_u32_e32 v25, vcc, s14, v8
	v_mov_b32_e32 v8, s15
	v_addc_co_u32_e32 v30, vcc, v8, v9, vcc
	v_lshlrev_b64 v[8:9], 4, v[34:35]
	v_add_co_u32_e32 v8, vcc, v25, v8
	v_addc_co_u32_e32 v9, vcc, v30, v9, vcc
	v_add_co_u32_e32 v10, vcc, v8, v10
	v_addc_co_u32_e32 v11, vcc, v9, v11, vcc
	global_store_dwordx4 v[10:11], v[20:23], off
	s_nop 0
	v_add_u32_e32 v20, 7, v24
	v_mad_u64_u32 v[10:11], s[2:3], s20, v20, 0
	v_mad_u64_u32 v[20:21], s[2:3], s21, v20, v[11:12]
	v_mov_b32_e32 v11, v20
	v_lshlrev_b64 v[10:11], 4, v[10:11]
	v_add_u32_e32 v20, 14, v24
	v_add_co_u32_e32 v10, vcc, v8, v10
	v_addc_co_u32_e32 v11, vcc, v9, v11, vcc
	global_store_dwordx4 v[10:11], v[50:53], off
	v_mad_u64_u32 v[10:11], s[2:3], s20, v20, 0
	v_mad_u64_u32 v[20:21], s[2:3], s21, v20, v[11:12]
	v_mov_b32_e32 v11, v20
	v_lshlrev_b64 v[10:11], 4, v[10:11]
	v_add_co_u32_e32 v10, vcc, v8, v10
	v_addc_co_u32_e32 v11, vcc, v9, v11, vcc
	global_store_dwordx4 v[10:11], v[16:19], off
	s_nop 0
	v_add_u32_e32 v16, 21, v24
	v_mad_u64_u32 v[10:11], s[2:3], s20, v16, 0
	v_mad_u64_u32 v[16:17], s[2:3], s21, v16, v[11:12]
	v_mov_b32_e32 v11, v16
	v_lshlrev_b64 v[10:11], 4, v[10:11]
	v_add_co_u32_e32 v10, vcc, v8, v10
	v_addc_co_u32_e32 v11, vcc, v9, v11, vcc
	global_store_dwordx4 v[10:11], v[26:29], off
	v_add_u32_e32 v10, 4, v46
	v_cmp_gt_u32_e32 vcc, 7, v10
	s_and_b64 exec, exec, vcc
	s_cbranch_execz .LBB0_20
; %bb.19:
	v_mul_i32_i24_e32 v11, 3, v47
	v_cndmask_b32_e64 v16, v11, 0, s[0:1]
	v_mov_b32_e32 v17, 0
	v_lshlrev_b64 v[16:17], 4, v[16:17]
	v_mov_b32_e32 v11, s9
	v_add_co_u32_e32 v28, vcc, s8, v16
	v_addc_co_u32_e32 v29, vcc, v11, v17, vcc
	global_load_dwordx4 v[16:19], v[28:29], off
	global_load_dwordx4 v[20:23], v[28:29], off offset:16
	global_load_dwordx4 v[24:27], v[28:29], off offset:32
	v_mad_u64_u32 v[28:29], s[0:1], s20, v10, 0
	v_add_u32_e32 v44, 18, v46
	v_add_u32_e32 v38, 11, v46
	;; [unrolled: 1-line block ×3, first 2 shown]
	v_mad_u64_u32 v[32:33], s[0:1], s20, v44, 0
	v_mad_u64_u32 v[30:31], s[0:1], s20, v38, 0
	;; [unrolled: 1-line block ×3, first 2 shown]
	v_mov_b32_e32 v11, v29
	v_mad_u64_u32 v[10:11], s[0:1], s21, v10, v[11:12]
	v_mov_b32_e32 v29, v33
	v_mov_b32_e32 v11, v31
	;; [unrolled: 1-line block ×3, first 2 shown]
	v_mad_u64_u32 v[44:45], s[0:1], s21, v44, v[29:30]
	v_mad_u64_u32 v[45:46], s[0:1], s21, v46, v[31:32]
	v_mov_b32_e32 v29, v10
	v_mad_u64_u32 v[38:39], s[0:1], s21, v38, v[11:12]
	v_lshlrev_b64 v[10:11], 4, v[28:29]
	v_mov_b32_e32 v33, v44
	v_mov_b32_e32 v31, v38
	v_mov_b32_e32 v35, v45
	s_waitcnt vmcnt(2)
	v_mul_f64 v[42:43], v[4:5], v[18:19]
	v_mul_f64 v[18:19], v[0:1], v[18:19]
	s_waitcnt vmcnt(1)
	v_mul_f64 v[46:47], v[6:7], v[22:23]
	v_mul_f64 v[22:23], v[2:3], v[22:23]
	;; [unrolled: 3-line block ×3, first 2 shown]
	v_fma_f64 v[0:1], v[0:1], v[16:17], -v[42:43]
	v_fma_f64 v[4:5], v[4:5], v[16:17], v[18:19]
	v_fma_f64 v[2:3], v[2:3], v[20:21], -v[46:47]
	v_fma_f64 v[6:7], v[6:7], v[20:21], v[22:23]
	;; [unrolled: 2-line block ×3, first 2 shown]
	v_lshlrev_b64 v[22:23], 4, v[32:33]
	v_lshlrev_b64 v[24:25], 4, v[34:35]
	v_add_f64 v[18:19], v[36:37], -v[2:3]
	v_add_f64 v[20:21], v[12:13], -v[6:7]
	;; [unrolled: 1-line block ×4, first 2 shown]
	v_lshlrev_b64 v[14:15], 4, v[30:31]
	v_add_co_u32_e32 v30, vcc, v8, v10
	v_addc_co_u32_e32 v31, vcc, v9, v11, vcc
	v_fma_f64 v[16:17], v[36:37], 2.0, -v[18:19]
	v_fma_f64 v[26:27], v[12:13], 2.0, -v[20:21]
	;; [unrolled: 1-line block ×4, first 2 shown]
	v_add_f64 v[0:1], v[18:19], -v[6:7]
	v_add_f64 v[2:3], v[20:21], v[2:3]
	v_add_f64 v[4:5], v[16:17], -v[12:13]
	v_add_f64 v[6:7], v[26:27], -v[28:29]
	v_add_co_u32_e32 v28, vcc, v8, v14
	v_addc_co_u32_e32 v29, vcc, v9, v15, vcc
	v_fma_f64 v[10:11], v[18:19], 2.0, -v[0:1]
	v_fma_f64 v[12:13], v[20:21], 2.0, -v[2:3]
	v_fma_f64 v[14:15], v[16:17], 2.0, -v[4:5]
	v_fma_f64 v[16:17], v[26:27], 2.0, -v[6:7]
	v_add_co_u32_e32 v18, vcc, v8, v22
	v_addc_co_u32_e32 v19, vcc, v9, v23, vcc
	v_add_co_u32_e32 v8, vcc, v8, v24
	v_addc_co_u32_e32 v9, vcc, v9, v25, vcc
	global_store_dwordx4 v[30:31], v[14:17], off
	global_store_dwordx4 v[28:29], v[10:13], off
	global_store_dwordx4 v[18:19], v[4:7], off
	global_store_dwordx4 v[8:9], v[0:3], off
.LBB0_20:
	s_endpgm
	.section	.rodata,"a",@progbits
	.p2align	6, 0x0
	.amdhsa_kernel fft_rtc_fwd_len28_factors_7_4_wgs_64_tpt_4_halfLds_dp_op_CI_CI_sbrr_dirReg
		.amdhsa_group_segment_fixed_size 0
		.amdhsa_private_segment_fixed_size 0
		.amdhsa_kernarg_size 104
		.amdhsa_user_sgpr_count 6
		.amdhsa_user_sgpr_private_segment_buffer 1
		.amdhsa_user_sgpr_dispatch_ptr 0
		.amdhsa_user_sgpr_queue_ptr 0
		.amdhsa_user_sgpr_kernarg_segment_ptr 1
		.amdhsa_user_sgpr_dispatch_id 0
		.amdhsa_user_sgpr_flat_scratch_init 0
		.amdhsa_user_sgpr_private_segment_size 0
		.amdhsa_uses_dynamic_stack 0
		.amdhsa_system_sgpr_private_segment_wavefront_offset 0
		.amdhsa_system_sgpr_workgroup_id_x 1
		.amdhsa_system_sgpr_workgroup_id_y 0
		.amdhsa_system_sgpr_workgroup_id_z 0
		.amdhsa_system_sgpr_workgroup_info 0
		.amdhsa_system_vgpr_workitem_id 0
		.amdhsa_next_free_vgpr 60
		.amdhsa_next_free_sgpr 36
		.amdhsa_reserve_vcc 1
		.amdhsa_reserve_flat_scratch 0
		.amdhsa_float_round_mode_32 0
		.amdhsa_float_round_mode_16_64 0
		.amdhsa_float_denorm_mode_32 3
		.amdhsa_float_denorm_mode_16_64 3
		.amdhsa_dx10_clamp 1
		.amdhsa_ieee_mode 1
		.amdhsa_fp16_overflow 0
		.amdhsa_exception_fp_ieee_invalid_op 0
		.amdhsa_exception_fp_denorm_src 0
		.amdhsa_exception_fp_ieee_div_zero 0
		.amdhsa_exception_fp_ieee_overflow 0
		.amdhsa_exception_fp_ieee_underflow 0
		.amdhsa_exception_fp_ieee_inexact 0
		.amdhsa_exception_int_div_zero 0
	.end_amdhsa_kernel
	.text
.Lfunc_end0:
	.size	fft_rtc_fwd_len28_factors_7_4_wgs_64_tpt_4_halfLds_dp_op_CI_CI_sbrr_dirReg, .Lfunc_end0-fft_rtc_fwd_len28_factors_7_4_wgs_64_tpt_4_halfLds_dp_op_CI_CI_sbrr_dirReg
                                        ; -- End function
	.section	.AMDGPU.csdata,"",@progbits
; Kernel info:
; codeLenInByte = 3888
; NumSgprs: 40
; NumVgprs: 60
; ScratchSize: 0
; MemoryBound: 1
; FloatMode: 240
; IeeeMode: 1
; LDSByteSize: 0 bytes/workgroup (compile time only)
; SGPRBlocks: 4
; VGPRBlocks: 14
; NumSGPRsForWavesPerEU: 40
; NumVGPRsForWavesPerEU: 60
; Occupancy: 4
; WaveLimiterHint : 1
; COMPUTE_PGM_RSRC2:SCRATCH_EN: 0
; COMPUTE_PGM_RSRC2:USER_SGPR: 6
; COMPUTE_PGM_RSRC2:TRAP_HANDLER: 0
; COMPUTE_PGM_RSRC2:TGID_X_EN: 1
; COMPUTE_PGM_RSRC2:TGID_Y_EN: 0
; COMPUTE_PGM_RSRC2:TGID_Z_EN: 0
; COMPUTE_PGM_RSRC2:TIDIG_COMP_CNT: 0
	.type	__hip_cuid_b0c93ee3e600124e,@object ; @__hip_cuid_b0c93ee3e600124e
	.section	.bss,"aw",@nobits
	.globl	__hip_cuid_b0c93ee3e600124e
__hip_cuid_b0c93ee3e600124e:
	.byte	0                               ; 0x0
	.size	__hip_cuid_b0c93ee3e600124e, 1

	.ident	"AMD clang version 19.0.0git (https://github.com/RadeonOpenCompute/llvm-project roc-6.4.0 25133 c7fe45cf4b819c5991fe208aaa96edf142730f1d)"
	.section	".note.GNU-stack","",@progbits
	.addrsig
	.addrsig_sym __hip_cuid_b0c93ee3e600124e
	.amdgpu_metadata
---
amdhsa.kernels:
  - .args:
      - .actual_access:  read_only
        .address_space:  global
        .offset:         0
        .size:           8
        .value_kind:     global_buffer
      - .offset:         8
        .size:           8
        .value_kind:     by_value
      - .actual_access:  read_only
        .address_space:  global
        .offset:         16
        .size:           8
        .value_kind:     global_buffer
      - .actual_access:  read_only
        .address_space:  global
        .offset:         24
        .size:           8
        .value_kind:     global_buffer
      - .actual_access:  read_only
        .address_space:  global
        .offset:         32
        .size:           8
        .value_kind:     global_buffer
      - .offset:         40
        .size:           8
        .value_kind:     by_value
      - .actual_access:  read_only
        .address_space:  global
        .offset:         48
        .size:           8
        .value_kind:     global_buffer
      - .actual_access:  read_only
        .address_space:  global
        .offset:         56
        .size:           8
        .value_kind:     global_buffer
      - .offset:         64
        .size:           4
        .value_kind:     by_value
      - .actual_access:  read_only
        .address_space:  global
        .offset:         72
        .size:           8
        .value_kind:     global_buffer
      - .actual_access:  read_only
        .address_space:  global
        .offset:         80
        .size:           8
        .value_kind:     global_buffer
      - .actual_access:  read_only
        .address_space:  global
        .offset:         88
        .size:           8
        .value_kind:     global_buffer
      - .actual_access:  write_only
        .address_space:  global
        .offset:         96
        .size:           8
        .value_kind:     global_buffer
    .group_segment_fixed_size: 0
    .kernarg_segment_align: 8
    .kernarg_segment_size: 104
    .language:       OpenCL C
    .language_version:
      - 2
      - 0
    .max_flat_workgroup_size: 64
    .name:           fft_rtc_fwd_len28_factors_7_4_wgs_64_tpt_4_halfLds_dp_op_CI_CI_sbrr_dirReg
    .private_segment_fixed_size: 0
    .sgpr_count:     40
    .sgpr_spill_count: 0
    .symbol:         fft_rtc_fwd_len28_factors_7_4_wgs_64_tpt_4_halfLds_dp_op_CI_CI_sbrr_dirReg.kd
    .uniform_work_group_size: 1
    .uses_dynamic_stack: false
    .vgpr_count:     60
    .vgpr_spill_count: 0
    .wavefront_size: 64
amdhsa.target:   amdgcn-amd-amdhsa--gfx906
amdhsa.version:
  - 1
  - 2
...

	.end_amdgpu_metadata
